;; amdgpu-corpus repo=ROCm/rocFFT kind=compiled arch=gfx1201 opt=O3
	.text
	.amdgcn_target "amdgcn-amd-amdhsa--gfx1201"
	.amdhsa_code_object_version 6
	.protected	fft_rtc_fwd_len168_factors_7_6_4_wgs_252_tpt_42_halfLds_dp_op_CI_CI_sbcc_twdbase8_2step_dirReg ; -- Begin function fft_rtc_fwd_len168_factors_7_6_4_wgs_252_tpt_42_halfLds_dp_op_CI_CI_sbcc_twdbase8_2step_dirReg
	.globl	fft_rtc_fwd_len168_factors_7_6_4_wgs_252_tpt_42_halfLds_dp_op_CI_CI_sbcc_twdbase8_2step_dirReg
	.p2align	8
	.type	fft_rtc_fwd_len168_factors_7_6_4_wgs_252_tpt_42_halfLds_dp_op_CI_CI_sbcc_twdbase8_2step_dirReg,@function
fft_rtc_fwd_len168_factors_7_6_4_wgs_252_tpt_42_halfLds_dp_op_CI_CI_sbcc_twdbase8_2step_dirReg: ; @fft_rtc_fwd_len168_factors_7_6_4_wgs_252_tpt_42_halfLds_dp_op_CI_CI_sbcc_twdbase8_2step_dirReg
; %bb.0:
	s_load_b128 s[20:23], s[0:1], 0x18
	s_mov_b32 s13, 0
	s_mov_b32 s2, 0xaaa80000
	s_movk_i32 s3, 0xaa
	s_mov_b32 s12, s13
	s_mov_b64 s[24:25], 0
	s_add_nc_u64 s[4:5], s[12:13], s[2:3]
	s_load_b64 s[2:3], s[0:1], 0x28
	s_add_co_i32 s5, s5, 0x2aaaaa00
	s_delay_alu instid0(SALU_CYCLE_1) | instskip(NEXT) | instid1(SALU_CYCLE_1)
	s_mul_u64 s[6:7], s[4:5], -6
	s_mul_hi_u32 s9, s4, s7
	s_mul_i32 s8, s4, s7
	s_mul_hi_u32 s12, s4, s6
	s_mul_i32 s11, s5, s6
	s_add_nc_u64 s[8:9], s[12:13], s[8:9]
	s_mul_hi_u32 s10, s5, s6
	s_mul_hi_u32 s14, s5, s7
	s_mul_i32 s6, s5, s7
	s_wait_kmcnt 0x0
	s_load_b64 s[30:31], s[20:21], 0x8
	s_add_co_u32 s7, s8, s11
	s_add_co_ci_u32 s12, s9, s10
	s_add_co_ci_u32 s7, s14, 0
	s_delay_alu instid0(SALU_CYCLE_1) | instskip(NEXT) | instid1(SALU_CYCLE_1)
	s_add_nc_u64 s[6:7], s[12:13], s[6:7]
	v_add_co_u32 v1, s4, s4, s6
	s_delay_alu instid0(VALU_DEP_1) | instskip(SKIP_1) | instid1(VALU_DEP_1)
	s_cmp_lg_u32 s4, 0
	s_add_co_ci_u32 s8, s5, s7
	v_readfirstlane_b32 s9, v1
	s_wait_kmcnt 0x0
	s_add_nc_u64 s[4:5], s[30:31], -1
	s_wait_alu 0xfffe
	s_mul_hi_u32 s7, s4, s8
	s_mul_i32 s6, s4, s8
	s_mul_hi_u32 s12, s4, s9
	s_mul_hi_u32 s11, s5, s9
	s_mul_i32 s9, s5, s9
	s_wait_alu 0xfffe
	s_add_nc_u64 s[6:7], s[12:13], s[6:7]
	s_mul_hi_u32 s10, s5, s8
	s_wait_alu 0xfffe
	s_add_co_u32 s6, s6, s9
	s_add_co_ci_u32 s12, s7, s11
	s_mul_i32 s8, s5, s8
	s_add_co_ci_u32 s9, s10, 0
	s_delay_alu instid0(SALU_CYCLE_1) | instskip(SKIP_2) | instid1(SALU_CYCLE_1)
	s_add_nc_u64 s[6:7], s[12:13], s[8:9]
	s_wait_alu 0xfffe
	s_mul_u64 s[8:9], s[6:7], 6
	v_sub_co_u32 v1, s4, s4, s8
	s_delay_alu instid0(VALU_DEP_1) | instskip(SKIP_1) | instid1(VALU_DEP_1)
	s_cmp_lg_u32 s4, 0
	s_sub_co_ci_u32 s10, s5, s9
	v_sub_co_u32 v2, s8, v1, 6
	s_delay_alu instid0(VALU_DEP_1) | instskip(SKIP_2) | instid1(VALU_DEP_2)
	s_cmp_lg_u32 s8, 0
	v_readfirstlane_b32 s12, v1
	s_sub_co_ci_u32 s8, s10, 0
	v_readfirstlane_b32 s4, v2
	s_delay_alu instid0(VALU_DEP_1)
	s_cmp_gt_u32 s4, 5
	s_add_nc_u64 s[4:5], s[6:7], 1
	s_cselect_b32 s11, -1, 0
	s_wait_alu 0xfffe
	s_cmp_eq_u32 s8, 0
	s_add_nc_u64 s[8:9], s[6:7], 2
	s_cselect_b32 s11, s11, -1
	s_delay_alu instid0(SALU_CYCLE_1)
	s_cmp_lg_u32 s11, 0
	s_wait_alu 0xfffe
	s_cselect_b32 s4, s8, s4
	s_cselect_b32 s5, s9, s5
	s_cmp_gt_u32 s12, 5
	s_mov_b32 s12, ttmp9
	s_cselect_b32 s8, -1, 0
	s_cmp_eq_u32 s10, 0
	s_wait_alu 0xfffe
	s_cselect_b32 s8, s8, -1
	s_wait_alu 0xfffe
	s_cmp_lg_u32 s8, 0
	s_cselect_b32 s5, s5, s7
	s_cselect_b32 s4, s4, s6
	s_wait_alu 0xfffe
	s_add_nc_u64 s[14:15], s[4:5], 1
	s_delay_alu instid0(SALU_CYCLE_1) | instskip(NEXT) | instid1(VALU_DEP_1)
	v_cmp_lt_u64_e64 s4, s[12:13], s[14:15]
	s_and_b32 vcc_lo, exec_lo, s4
	s_cbranch_vccnz .LBB0_2
; %bb.1:
	v_cvt_f32_u32_e32 v1, s14
	s_sub_co_i32 s5, 0, s14
	s_mov_b32 s25, s13
	s_delay_alu instid0(VALU_DEP_1) | instskip(NEXT) | instid1(TRANS32_DEP_1)
	v_rcp_iflag_f32_e32 v1, v1
	v_mul_f32_e32 v1, 0x4f7ffffe, v1
	s_delay_alu instid0(VALU_DEP_1) | instskip(NEXT) | instid1(VALU_DEP_1)
	v_cvt_u32_f32_e32 v1, v1
	v_readfirstlane_b32 s4, v1
	s_wait_alu 0xfffe
	s_delay_alu instid0(VALU_DEP_1)
	s_mul_i32 s5, s5, s4
	s_wait_alu 0xfffe
	s_mul_hi_u32 s5, s4, s5
	s_wait_alu 0xfffe
	s_add_co_i32 s4, s4, s5
	s_wait_alu 0xfffe
	s_mul_hi_u32 s4, s12, s4
	s_wait_alu 0xfffe
	s_mul_i32 s5, s4, s14
	s_add_co_i32 s6, s4, 1
	s_wait_alu 0xfffe
	s_sub_co_i32 s5, s12, s5
	s_wait_alu 0xfffe
	s_sub_co_i32 s7, s5, s14
	s_cmp_ge_u32 s5, s14
	s_cselect_b32 s4, s6, s4
	s_wait_alu 0xfffe
	s_cselect_b32 s5, s7, s5
	s_add_co_i32 s6, s4, 1
	s_wait_alu 0xfffe
	s_cmp_ge_u32 s5, s14
	s_cselect_b32 s24, s6, s4
.LBB0_2:
	s_load_b128 s[8:11], s[0:1], 0x8
	s_load_b128 s[16:19], s[22:23], 0x0
	;; [unrolled: 1-line block ×3, first 2 shown]
	s_load_b64 s[28:29], s[0:1], 0x0
	s_mul_u64 s[26:27], s[24:25], s[14:15]
	s_delay_alu instid0(SALU_CYCLE_1) | instskip(NEXT) | instid1(SALU_CYCLE_1)
	s_sub_nc_u64 s[26:27], s[12:13], s[26:27]
	s_mul_u64 s[34:35], s[26:27], 6
	s_wait_kmcnt 0x0
	v_cmp_lt_u64_e64 s33, s[10:11], 3
	s_mul_u64 s[36:37], s[18:19], s[34:35]
	s_mul_u64 s[26:27], s[6:7], s[34:35]
	s_delay_alu instid0(VALU_DEP_1)
	s_and_b32 vcc_lo, exec_lo, s33
	s_cbranch_vccnz .LBB0_12
; %bb.3:
	s_add_nc_u64 s[38:39], s[2:3], 16
	s_add_nc_u64 s[40:41], s[22:23], 16
	;; [unrolled: 1-line block ×3, first 2 shown]
	s_mov_b64 s[42:43], 2
	s_mov_b32 s44, 0
.LBB0_4:                                ; =>This Inner Loop Header: Depth=1
	s_load_b64 s[46:47], s[20:21], 0x0
                                        ; implicit-def: $sgpr50_sgpr51
	s_wait_kmcnt 0x0
	s_or_b64 s[48:49], s[24:25], s[46:47]
	s_delay_alu instid0(SALU_CYCLE_1)
	s_mov_b32 s45, s49
	s_mov_b32 s49, -1
	s_cmp_lg_u64 s[44:45], 0
	s_cbranch_scc0 .LBB0_6
; %bb.5:                                ;   in Loop: Header=BB0_4 Depth=1
	s_cvt_f32_u32 s33, s46
	s_cvt_f32_u32 s45, s47
	s_sub_nc_u64 s[52:53], 0, s[46:47]
	s_mov_b32 s49, 0
	s_mov_b32 s57, s44
	s_wait_alu 0xfffe
	s_fmamk_f32 s33, s45, 0x4f800000, s33
	s_wait_alu 0xfffe
	s_delay_alu instid0(SALU_CYCLE_2) | instskip(NEXT) | instid1(TRANS32_DEP_1)
	v_s_rcp_f32 s33, s33
	s_mul_f32 s33, s33, 0x5f7ffffc
	s_wait_alu 0xfffe
	s_delay_alu instid0(SALU_CYCLE_2) | instskip(NEXT) | instid1(SALU_CYCLE_3)
	s_mul_f32 s45, s33, 0x2f800000
	s_trunc_f32 s45, s45
	s_delay_alu instid0(SALU_CYCLE_3) | instskip(SKIP_2) | instid1(SALU_CYCLE_1)
	s_fmamk_f32 s33, s45, 0xcf800000, s33
	s_cvt_u32_f32 s51, s45
	s_wait_alu 0xfffe
	s_cvt_u32_f32 s50, s33
	s_wait_alu 0xfffe
	s_delay_alu instid0(SALU_CYCLE_2)
	s_mul_u64 s[54:55], s[52:53], s[50:51]
	s_wait_alu 0xfffe
	s_mul_hi_u32 s59, s50, s55
	s_mul_i32 s58, s50, s55
	s_mul_hi_u32 s48, s50, s54
	s_mul_i32 s45, s51, s54
	s_add_nc_u64 s[58:59], s[48:49], s[58:59]
	s_mul_hi_u32 s33, s51, s54
	s_mul_hi_u32 s60, s51, s55
	s_add_co_u32 s45, s58, s45
	s_wait_alu 0xfffe
	s_add_co_ci_u32 s56, s59, s33
	s_mul_i32 s54, s51, s55
	s_add_co_ci_u32 s55, s60, 0
	s_wait_alu 0xfffe
	s_add_nc_u64 s[54:55], s[56:57], s[54:55]
	s_wait_alu 0xfffe
	v_add_co_u32 v1, s33, s50, s54
	s_delay_alu instid0(VALU_DEP_1) | instskip(SKIP_1) | instid1(VALU_DEP_1)
	s_cmp_lg_u32 s33, 0
	s_add_co_ci_u32 s51, s51, s55
	v_readfirstlane_b32 s50, v1
	s_mov_b32 s55, s44
	s_wait_alu 0xfffe
	s_delay_alu instid0(VALU_DEP_1)
	s_mul_u64 s[52:53], s[52:53], s[50:51]
	s_wait_alu 0xfffe
	s_mul_hi_u32 s57, s50, s53
	s_mul_i32 s56, s50, s53
	s_mul_hi_u32 s48, s50, s52
	s_mul_i32 s45, s51, s52
	s_add_nc_u64 s[56:57], s[48:49], s[56:57]
	s_mul_hi_u32 s33, s51, s52
	s_mul_hi_u32 s50, s51, s53
	s_add_co_u32 s45, s56, s45
	s_wait_alu 0xfffe
	s_add_co_ci_u32 s54, s57, s33
	s_mul_i32 s52, s51, s53
	s_add_co_ci_u32 s53, s50, 0
	s_wait_alu 0xfffe
	s_add_nc_u64 s[52:53], s[54:55], s[52:53]
	s_wait_alu 0xfffe
	v_add_co_u32 v1, s33, v1, s52
	s_delay_alu instid0(VALU_DEP_1) | instskip(SKIP_1) | instid1(VALU_DEP_1)
	s_cmp_lg_u32 s33, 0
	s_add_co_ci_u32 s33, s51, s53
	v_readfirstlane_b32 s45, v1
	s_wait_alu 0xfffe
	s_mul_hi_u32 s51, s24, s33
	s_mul_i32 s50, s24, s33
	s_mul_hi_u32 s53, s25, s33
	s_mul_i32 s52, s25, s33
	;; [unrolled: 2-line block ×3, first 2 shown]
	s_wait_alu 0xfffe
	s_add_nc_u64 s[50:51], s[48:49], s[50:51]
	s_mul_hi_u32 s45, s25, s45
	s_wait_alu 0xfffe
	s_add_co_u32 s33, s50, s33
	s_add_co_ci_u32 s54, s51, s45
	s_add_co_ci_u32 s53, s53, 0
	s_wait_alu 0xfffe
	s_add_nc_u64 s[50:51], s[54:55], s[52:53]
	s_wait_alu 0xfffe
	s_mul_u64 s[52:53], s[46:47], s[50:51]
	s_add_nc_u64 s[54:55], s[50:51], 1
	s_wait_alu 0xfffe
	v_sub_co_u32 v1, s33, s24, s52
	s_sub_co_i32 s45, s25, s53
	s_cmp_lg_u32 s33, 0
	s_add_nc_u64 s[56:57], s[50:51], 2
	s_delay_alu instid0(VALU_DEP_1) | instskip(SKIP_2) | instid1(VALU_DEP_1)
	v_sub_co_u32 v2, s48, v1, s46
	s_sub_co_ci_u32 s45, s45, s47
	s_cmp_lg_u32 s48, 0
	v_readfirstlane_b32 s48, v2
	s_sub_co_ci_u32 s45, s45, 0
	s_delay_alu instid0(SALU_CYCLE_1) | instskip(SKIP_1) | instid1(VALU_DEP_1)
	s_cmp_ge_u32 s45, s47
	s_cselect_b32 s52, -1, 0
	s_cmp_ge_u32 s48, s46
	s_cselect_b32 s48, -1, 0
	s_cmp_eq_u32 s45, s47
	s_wait_alu 0xfffe
	s_cselect_b32 s45, s48, s52
	s_delay_alu instid0(SALU_CYCLE_1)
	s_cmp_lg_u32 s45, 0
	s_cselect_b32 s45, s56, s54
	s_cselect_b32 s48, s57, s55
	s_cmp_lg_u32 s33, 0
	v_readfirstlane_b32 s33, v1
	s_sub_co_ci_u32 s52, s25, s53
	s_wait_alu 0xfffe
	s_cmp_ge_u32 s52, s47
	s_cselect_b32 s53, -1, 0
	s_cmp_ge_u32 s33, s46
	s_cselect_b32 s33, -1, 0
	s_cmp_eq_u32 s52, s47
	s_wait_alu 0xfffe
	s_cselect_b32 s33, s33, s53
	s_wait_alu 0xfffe
	s_cmp_lg_u32 s33, 0
	s_cselect_b32 s51, s48, s51
	s_cselect_b32 s50, s45, s50
.LBB0_6:                                ;   in Loop: Header=BB0_4 Depth=1
	s_and_not1_b32 vcc_lo, exec_lo, s49
	s_cbranch_vccnz .LBB0_8
; %bb.7:                                ;   in Loop: Header=BB0_4 Depth=1
	v_cvt_f32_u32_e32 v1, s46
	s_sub_co_i32 s45, 0, s46
	s_mov_b32 s51, s44
	s_delay_alu instid0(VALU_DEP_1) | instskip(NEXT) | instid1(TRANS32_DEP_1)
	v_rcp_iflag_f32_e32 v1, v1
	v_mul_f32_e32 v1, 0x4f7ffffe, v1
	s_delay_alu instid0(VALU_DEP_1) | instskip(NEXT) | instid1(VALU_DEP_1)
	v_cvt_u32_f32_e32 v1, v1
	v_readfirstlane_b32 s33, v1
	s_delay_alu instid0(VALU_DEP_1) | instskip(NEXT) | instid1(SALU_CYCLE_1)
	s_mul_i32 s45, s45, s33
	s_mul_hi_u32 s45, s33, s45
	s_delay_alu instid0(SALU_CYCLE_1)
	s_add_co_i32 s33, s33, s45
	s_wait_alu 0xfffe
	s_mul_hi_u32 s33, s24, s33
	s_wait_alu 0xfffe
	s_mul_i32 s45, s33, s46
	s_add_co_i32 s48, s33, 1
	s_sub_co_i32 s45, s24, s45
	s_delay_alu instid0(SALU_CYCLE_1)
	s_sub_co_i32 s49, s45, s46
	s_cmp_ge_u32 s45, s46
	s_cselect_b32 s33, s48, s33
	s_cselect_b32 s45, s49, s45
	s_wait_alu 0xfffe
	s_add_co_i32 s48, s33, 1
	s_cmp_ge_u32 s45, s46
	s_cselect_b32 s50, s48, s33
.LBB0_8:                                ;   in Loop: Header=BB0_4 Depth=1
	s_load_b64 s[48:49], s[40:41], 0x0
	s_load_b64 s[52:53], s[38:39], 0x0
	s_add_nc_u64 s[42:43], s[42:43], 1
	s_mul_u64 s[14:15], s[46:47], s[14:15]
	s_wait_alu 0xfffe
	v_cmp_ge_u64_e64 s33, s[42:43], s[10:11]
	s_mul_u64 s[46:47], s[50:51], s[46:47]
	s_add_nc_u64 s[38:39], s[38:39], 8
	s_wait_alu 0xfffe
	s_sub_nc_u64 s[24:25], s[24:25], s[46:47]
	s_add_nc_u64 s[40:41], s[40:41], 8
	s_add_nc_u64 s[20:21], s[20:21], 8
	s_and_b32 vcc_lo, exec_lo, s33
	s_wait_kmcnt 0x0
	s_wait_alu 0xfffe
	s_mul_u64 s[46:47], s[48:49], s[24:25]
	s_mul_u64 s[24:25], s[52:53], s[24:25]
	s_wait_alu 0xfffe
	s_add_nc_u64 s[36:37], s[46:47], s[36:37]
	s_add_nc_u64 s[26:27], s[24:25], s[26:27]
	s_cbranch_vccnz .LBB0_10
; %bb.9:                                ;   in Loop: Header=BB0_4 Depth=1
	s_mov_b64 s[24:25], s[50:51]
	s_branch .LBB0_4
.LBB0_10:
	v_cmp_lt_u64_e64 s13, s[12:13], s[14:15]
	s_mov_b64 s[24:25], 0
	s_delay_alu instid0(VALU_DEP_1)
	s_and_b32 vcc_lo, exec_lo, s13
	s_cbranch_vccnz .LBB0_12
; %bb.11:
	v_cvt_f32_u32_e32 v1, s14
	s_sub_co_i32 s15, 0, s14
	s_mov_b32 s25, 0
	s_delay_alu instid0(VALU_DEP_1) | instskip(NEXT) | instid1(TRANS32_DEP_1)
	v_rcp_iflag_f32_e32 v1, v1
	v_mul_f32_e32 v1, 0x4f7ffffe, v1
	s_delay_alu instid0(VALU_DEP_1) | instskip(NEXT) | instid1(VALU_DEP_1)
	v_cvt_u32_f32_e32 v1, v1
	v_readfirstlane_b32 s13, v1
	s_wait_alu 0xfffe
	s_delay_alu instid0(VALU_DEP_1)
	s_mul_i32 s15, s15, s13
	s_wait_alu 0xfffe
	s_mul_hi_u32 s15, s13, s15
	s_wait_alu 0xfffe
	s_add_co_i32 s13, s13, s15
	s_wait_alu 0xfffe
	s_mul_hi_u32 s13, s12, s13
	s_wait_alu 0xfffe
	s_mul_i32 s15, s13, s14
	s_wait_alu 0xfffe
	s_sub_co_i32 s12, s12, s15
	s_add_co_i32 s15, s13, 1
	s_wait_alu 0xfffe
	s_sub_co_i32 s20, s12, s14
	s_cmp_ge_u32 s12, s14
	s_cselect_b32 s13, s15, s13
	s_cselect_b32 s12, s20, s12
	s_wait_alu 0xfffe
	s_add_co_i32 s15, s13, 1
	s_cmp_ge_u32 s12, s14
	s_wait_alu 0xfffe
	s_cselect_b32 s24, s15, s13
.LBB0_12:
	s_lshl_b64 s[10:11], s[10:11], 3
	s_load_b128 s[12:15], s[0:1], 0x60
	s_add_nc_u64 s[0:1], s[22:23], s[10:11]
	v_mul_u32_u24_e32 v1, 0x2aab, v0
	s_load_b64 s[20:21], s[0:1], 0x0
	s_add_nc_u64 s[22:23], s[34:35], 6
	v_cmp_gt_u32_e64 s0, 0x90, v0
	v_cmp_le_u64_e64 s22, s[22:23], s[30:31]
	v_lshrrev_b32_e32 v45, 16, v1
                                        ; implicit-def: $vgpr9_vgpr10
                                        ; implicit-def: $vgpr21_vgpr22
                                        ; implicit-def: $vgpr37_vgpr38
                                        ; implicit-def: $vgpr33_vgpr34
                                        ; implicit-def: $vgpr29_vgpr30
                                        ; implicit-def: $vgpr25_vgpr26
                                        ; implicit-def: $vgpr5_vgpr6
	s_delay_alu instid0(VALU_DEP_1)
	v_mul_lo_u16 v3, v45, 6
	v_add_nc_u32_e32 v14, 24, v45
	v_add_nc_u32_e32 v13, 48, v45
	v_add_nc_u32_e32 v11, 0x48, v45
	v_add_nc_u32_e32 v12, 0x60, v45
	v_sub_nc_u16 v3, v0, v3
	v_add_nc_u32_e32 v2, 0x78, v45
	v_add_nc_u32_e32 v1, 0x90, v45
	s_and_b32 s23, s0, s22
	s_delay_alu instid0(VALU_DEP_3) | instskip(SKIP_2) | instid1(SALU_CYCLE_1)
	v_and_b32_e32 v44, 0xffff, v3
	s_wait_kmcnt 0x0
	s_mul_u64 s[20:21], s[20:21], s[24:25]
	s_add_nc_u64 s[20:21], s[20:21], s[36:37]
	s_wait_alu 0xfffe
	s_and_saveexec_b32 s1, s23
	s_cbranch_execz .LBB0_14
; %bb.13:
	v_mad_co_u64_u32 v[3:4], null, s18, v44, 0
	v_mad_co_u64_u32 v[5:6], null, s16, v45, 0
	v_mad_co_u64_u32 v[7:8], null, s16, v14, 0
	v_mad_co_u64_u32 v[15:16], null, s16, v13, 0
	v_mad_co_u64_u32 v[17:18], null, s16, v11, 0
	s_delay_alu instid0(VALU_DEP_4) | instskip(NEXT) | instid1(VALU_DEP_4)
	v_mad_co_u64_u32 v[9:10], null, s19, v44, v[4:5]
	v_mov_b32_e32 v4, v8
	v_mad_co_u64_u32 v[19:20], null, s17, v45, v[6:7]
	v_mov_b32_e32 v8, v16
	s_lshl_b64 s[36:37], s[20:21], 4
	s_delay_alu instid0(VALU_DEP_3) | instskip(SKIP_1) | instid1(VALU_DEP_3)
	v_mad_co_u64_u32 v[20:21], null, s17, v14, v[4:5]
	v_mov_b32_e32 v4, v9
	v_mad_co_u64_u32 v[9:10], null, s17, v13, v[8:9]
	v_mov_b32_e32 v6, v19
	s_add_nc_u64 s[36:37], s[12:13], s[36:37]
	s_delay_alu instid0(VALU_DEP_3)
	v_lshlrev_b64_e32 v[3:4], 4, v[3:4]
	v_mov_b32_e32 v8, v20
	v_mad_co_u64_u32 v[21:22], null, s16, v12, 0
	v_lshlrev_b64_e32 v[5:6], 4, v[5:6]
	v_mad_co_u64_u32 v[19:20], null, s16, v2, 0
	v_add_co_u32 v29, vcc_lo, s36, v3
	v_add_co_ci_u32_e32 v30, vcc_lo, s37, v4, vcc_lo
	v_lshlrev_b64_e32 v[3:4], 4, v[7:8]
	s_delay_alu instid0(VALU_DEP_3) | instskip(SKIP_1) | instid1(VALU_DEP_3)
	v_add_co_u32 v5, vcc_lo, v29, v5
	s_wait_alu 0xfffd
	v_add_co_ci_u32_e32 v6, vcc_lo, v30, v6, vcc_lo
	v_mov_b32_e32 v16, v9
	s_delay_alu instid0(VALU_DEP_4)
	v_add_co_u32 v7, vcc_lo, v29, v3
	s_wait_alu 0xfffd
	v_add_co_ci_u32_e32 v8, vcc_lo, v30, v4, vcc_lo
	v_dual_mov_b32 v3, v18 :: v_dual_mov_b32 v4, v22
	v_mad_co_u64_u32 v[26:27], null, s17, v2, v[20:21]
	v_lshlrev_b64_e32 v[15:16], 4, v[15:16]
	s_delay_alu instid0(VALU_DEP_3) | instskip(SKIP_2) | instid1(VALU_DEP_4)
	v_mad_co_u64_u32 v[22:23], null, s17, v11, v[3:4]
	v_mad_co_u64_u32 v[23:24], null, s17, v12, v[4:5]
	;; [unrolled: 1-line block ×3, first 2 shown]
	v_add_co_u32 v15, vcc_lo, v29, v15
	s_delay_alu instid0(VALU_DEP_4)
	v_mov_b32_e32 v18, v22
	s_wait_alu 0xfffd
	v_add_co_ci_u32_e32 v16, vcc_lo, v30, v16, vcc_lo
	v_mov_b32_e32 v22, v23
	v_mov_b32_e32 v20, v25
	v_lshlrev_b64_e32 v[17:18], 4, v[17:18]
	s_clause 0x1
	global_load_b128 v[3:6], v[5:6], off
	global_load_b128 v[7:10], v[7:8], off
	v_mad_co_u64_u32 v[27:28], null, s17, v1, v[20:21]
	v_lshlrev_b64_e32 v[21:22], 4, v[21:22]
	v_mov_b32_e32 v20, v26
	v_add_co_u32 v17, vcc_lo, v29, v17
	s_wait_alu 0xfffd
	v_add_co_ci_u32_e32 v18, vcc_lo, v30, v18, vcc_lo
	v_mov_b32_e32 v25, v27
	v_lshlrev_b64_e32 v[19:20], 4, v[19:20]
	v_add_co_u32 v27, vcc_lo, v29, v21
	s_wait_alu 0xfffd
	v_add_co_ci_u32_e32 v28, vcc_lo, v30, v22, vcc_lo
	v_lshlrev_b64_e32 v[21:22], 4, v[24:25]
	s_delay_alu instid0(VALU_DEP_4) | instskip(SKIP_2) | instid1(VALU_DEP_3)
	v_add_co_u32 v31, vcc_lo, v29, v19
	s_wait_alu 0xfffd
	v_add_co_ci_u32_e32 v32, vcc_lo, v30, v20, vcc_lo
	v_add_co_u32 v35, vcc_lo, v29, v21
	s_wait_alu 0xfffd
	v_add_co_ci_u32_e32 v36, vcc_lo, v30, v22, vcc_lo
	s_clause 0x4
	global_load_b128 v[19:22], v[15:16], off
	global_load_b128 v[23:26], v[17:18], off
	global_load_b128 v[27:30], v[27:28], off
	global_load_b128 v[31:34], v[31:32], off
	global_load_b128 v[35:38], v[35:36], off
.LBB0_14:
	s_or_b32 exec_lo, exec_lo, s1
	v_add_co_u32 v39, s1, s34, v44
	s_delay_alu instid0(VALU_DEP_1) | instskip(SKIP_1) | instid1(VALU_DEP_1)
	v_add_co_ci_u32_e64 v40, null, s35, 0, s1
	s_xor_b32 s1, s22, -1
	v_cmp_gt_u64_e32 vcc_lo, s[30:31], v[39:40]
	s_and_b32 s23, s0, vcc_lo
	s_wait_alu 0xfffe
	s_and_b32 s1, s1, s23
	s_wait_alu 0xfffe
	s_and_saveexec_b32 s23, s1
	s_cbranch_execz .LBB0_16
; %bb.15:
	s_wait_loadcnt 0x6
	v_mad_co_u64_u32 v[3:4], null, s18, v44, 0
	v_mad_co_u64_u32 v[5:6], null, s16, v45, 0
	s_wait_loadcnt 0x5
	v_mad_co_u64_u32 v[7:8], null, s16, v14, 0
	v_mad_co_u64_u32 v[15:16], null, s16, v13, 0
	v_mad_co_u64_u32 v[17:18], null, s16, v11, 0
	s_delay_alu instid0(VALU_DEP_4) | instskip(NEXT) | instid1(VALU_DEP_4)
	v_mad_co_u64_u32 v[9:10], null, s19, v44, v[4:5]
	v_mov_b32_e32 v4, v8
	s_wait_loadcnt 0x4
	v_mad_co_u64_u32 v[19:20], null, s17, v45, v[6:7]
	v_mov_b32_e32 v8, v16
	s_lshl_b64 s[20:21], s[20:21], 4
	v_mad_co_u64_u32 v[20:21], null, s17, v14, v[4:5]
	v_mov_b32_e32 v4, v9
	s_delay_alu instid0(VALU_DEP_3) | instskip(SKIP_2) | instid1(VALU_DEP_3)
	v_mad_co_u64_u32 v[9:10], null, s17, v13, v[8:9]
	v_mov_b32_e32 v6, v19
	s_add_nc_u64 s[12:13], s[12:13], s[20:21]
	v_lshlrev_b64_e32 v[3:4], 4, v[3:4]
	v_mov_b32_e32 v8, v20
	v_mad_co_u64_u32 v[21:22], null, s16, v12, 0
	v_lshlrev_b64_e32 v[5:6], 4, v[5:6]
	v_mov_b32_e32 v16, v9
	s_wait_loadcnt 0x3
	s_wait_alu 0xfffe
	v_add_co_u32 v25, s1, s12, v3
	s_wait_alu 0xf1ff
	v_add_co_ci_u32_e64 v26, s1, s13, v4, s1
	v_lshlrev_b64_e32 v[3:4], 4, v[7:8]
	s_delay_alu instid0(VALU_DEP_3) | instskip(SKIP_1) | instid1(VALU_DEP_3)
	v_add_co_u32 v5, s1, v25, v5
	s_wait_alu 0xf1ff
	v_add_co_ci_u32_e64 v6, s1, v26, v6, s1
	v_mad_co_u64_u32 v[13:14], null, s16, v2, 0
	s_delay_alu instid0(VALU_DEP_4) | instskip(SKIP_4) | instid1(VALU_DEP_1)
	v_add_co_u32 v7, s1, v25, v3
	v_mov_b32_e32 v3, v18
	s_wait_alu 0xf1ff
	v_add_co_ci_u32_e64 v8, s1, v26, v4, s1
	v_mov_b32_e32 v4, v22
	v_mad_co_u64_u32 v[18:19], null, s17, v11, v[3:4]
	v_mad_co_u64_u32 v[11:12], null, s17, v12, v[4:5]
	s_clause 0x1
	global_load_b128 v[3:6], v[5:6], off
	global_load_b128 v[7:10], v[7:8], off
	v_mad_co_u64_u32 v[19:20], null, s16, v1, 0
	v_mov_b32_e32 v12, v14
	v_lshlrev_b64_e32 v[14:15], 4, v[15:16]
	v_mov_b32_e32 v22, v11
	s_delay_alu instid0(VALU_DEP_3) | instskip(SKIP_1) | instid1(VALU_DEP_4)
	v_mad_co_u64_u32 v[11:12], null, s17, v2, v[12:13]
	v_mov_b32_e32 v2, v20
	v_add_co_u32 v23, s1, v25, v14
	s_wait_alu 0xf1ff
	v_add_co_ci_u32_e64 v24, s1, v26, v15, s1
	v_lshlrev_b64_e32 v[15:16], 4, v[17:18]
	v_mov_b32_e32 v14, v11
	v_lshlrev_b64_e32 v[17:18], 4, v[21:22]
	s_delay_alu instid0(VALU_DEP_3) | instskip(NEXT) | instid1(VALU_DEP_3)
	v_add_co_u32 v11, s1, v25, v15
	v_lshlrev_b64_e32 v[13:14], 4, v[13:14]
	s_wait_alu 0xf1ff
	v_add_co_ci_u32_e64 v12, s1, v26, v16, s1
	s_wait_loadcnt 0x1
	v_mad_co_u64_u32 v[1:2], null, s17, v1, v[2:3]
	s_delay_alu instid0(VALU_DEP_1) | instskip(SKIP_3) | instid1(VALU_DEP_3)
	v_mov_b32_e32 v20, v1
	v_add_co_u32 v1, s1, v25, v17
	s_wait_alu 0xf1ff
	v_add_co_ci_u32_e64 v2, s1, v26, v18, s1
	v_lshlrev_b64_e32 v[15:16], 4, v[19:20]
	v_add_co_u32 v13, s1, v25, v13
	s_wait_alu 0xf1ff
	v_add_co_ci_u32_e64 v14, s1, v26, v14, s1
	s_delay_alu instid0(VALU_DEP_3)
	v_add_co_u32 v15, s1, v25, v15
	s_wait_alu 0xf1ff
	v_add_co_ci_u32_e64 v16, s1, v26, v16, s1
	s_clause 0x4
	global_load_b128 v[19:22], v[23:24], off
	global_load_b128 v[23:26], v[11:12], off
	;; [unrolled: 1-line block ×5, first 2 shown]
.LBB0_16:
	s_wait_alu 0xfffe
	s_or_b32 exec_lo, exec_lo, s23
	s_wait_loadcnt 0x0
	v_add_f64_e32 v[1:2], v[7:8], v[35:36]
	v_add_f64_e32 v[11:12], v[19:20], v[31:32]
	;; [unrolled: 1-line block ×3, first 2 shown]
	v_add_f64_e64 v[15:16], v[21:22], -v[33:34]
	v_add_f64_e64 v[17:18], v[29:30], -v[25:26]
	;; [unrolled: 1-line block ×3, first 2 shown]
	s_mov_b32 s12, 0x36b3c0b5
	s_mov_b32 s13, 0x3fac98ee
	;; [unrolled: 1-line block ×10, first 2 shown]
	v_add_f64_e32 v[42:43], v[1:2], v[11:12]
	v_add_f64_e64 v[46:47], v[13:14], -v[11:12]
	v_add_f64_e64 v[11:12], v[11:12], -v[1:2]
	v_add_f64_e64 v[48:49], v[17:18], -v[15:16]
	v_add_f64_e64 v[50:51], v[15:16], -v[40:41]
	v_add_f64_e32 v[15:16], v[15:16], v[17:18]
	v_add_f64_e64 v[17:18], v[40:41], -v[17:18]
	v_add_f64_e32 v[42:43], v[42:43], v[13:14]
	v_add_f64_e64 v[13:14], v[1:2], -v[13:14]
	s_wait_alu 0xfffe
	v_mul_f64_e32 v[46:47], s[12:13], v[46:47]
	s_mov_b32 s12, 0x37e14327
	v_mul_f64_e32 v[48:49], s[16:17], v[48:49]
	s_mov_b32 s13, 0x3fe948f6
	;; [unrolled: 2-line block ×3, first 2 shown]
	s_mov_b32 s17, 0xbff2aaaa
	v_add_f64_e32 v[15:16], v[40:41], v[15:16]
	v_add_f64_e32 v[1:2], v[3:4], v[42:43]
	s_wait_alu 0xfffe
	v_mul_f64_e32 v[3:4], s[12:13], v[13:14]
	v_fma_f64 v[13:14], v[13:14], s[12:13], v[46:47]
	v_fma_f64 v[46:47], v[11:12], s[20:21], -v[46:47]
	s_mov_b32 s21, 0xbfe77f67
	v_fma_f64 v[40:41], v[17:18], s[30:31], v[48:49]
	s_mov_b32 s31, 0xbfd5d0dc
	v_fma_f64 v[48:49], v[50:51], s[18:19], -v[48:49]
	s_wait_alu 0xfffe
	v_fma_f64 v[17:18], v[17:18], s[30:31], -v[52:53]
	s_mov_b32 s12, 0x37c3f68c
	s_mov_b32 s13, 0x3fdc38aa
	v_fma_f64 v[50:51], v[42:43], s[16:17], v[1:2]
	v_fma_f64 v[3:4], v[11:12], s[20:21], -v[3:4]
	s_wait_alu 0xfffe
	v_fma_f64 v[40:41], v[15:16], s[12:13], v[40:41]
	v_fma_f64 v[48:49], v[15:16], s[12:13], v[48:49]
	;; [unrolled: 1-line block ×3, first 2 shown]
	v_add_f64_e32 v[42:43], v[50:51], v[13:14]
	v_add_f64_e32 v[52:53], v[50:51], v[3:4]
	;; [unrolled: 1-line block ×3, first 2 shown]
	v_mul_u32_u24_e32 v47, 0x150, v45
	v_lshlrev_b32_e32 v46, 3, v44
	v_add_f64_e32 v[3:4], v[40:41], v[42:43]
	v_add_f64_e32 v[11:12], v[17:18], v[52:53]
	v_add_f64_e64 v[13:14], v[15:16], -v[48:49]
	v_add_f64_e32 v[15:16], v[48:49], v[15:16]
	v_add_f64_e64 v[17:18], v[52:53], -v[17:18]
	s_and_saveexec_b32 s1, s0
	s_cbranch_execz .LBB0_18
; %bb.17:
	v_add_f64_e64 v[40:41], v[42:43], -v[40:41]
	v_add3_u32 v42, 0, v47, v46
	ds_store_2addr_b64 v42, v[1:2], v[3:4] offset1:6
	ds_store_2addr_b64 v42, v[11:12], v[13:14] offset0:12 offset1:18
	ds_store_2addr_b64 v42, v[15:16], v[17:18] offset0:24 offset1:30
	ds_store_b64 v42, v[40:41] offset:288
.LBB0_18:
	s_wait_alu 0xfffe
	s_or_b32 exec_lo, exec_lo, s1
	v_cmp_gt_u32_e64 s1, 0xa8, v0
	v_mul_u32_u24_e32 v40, 48, v45
	global_wb scope:SCOPE_SE
	s_wait_dscnt 0x0
	s_barrier_signal -1
	s_barrier_wait -1
	global_inv scope:SCOPE_SE
	s_and_saveexec_b32 s12, s1
	s_cbranch_execz .LBB0_20
; %bb.19:
	v_add3_u32 v1, 0, v40, v46
	s_delay_alu instid0(VALU_DEP_1)
	v_add_nc_u32_e32 v11, 0x800, v1
	v_add_nc_u32_e32 v15, 0x1400, v1
	ds_load_2addr_b64 v[1:4], v1 offset1:168
	ds_load_2addr_b64 v[11:14], v11 offset0:80 offset1:248
	ds_load_2addr_b64 v[15:18], v15 offset0:32 offset1:200
.LBB0_20:
	s_wait_alu 0xfffe
	s_or_b32 exec_lo, exec_lo, s12
	v_add_f64_e32 v[9:10], v[9:10], v[37:38]
	v_add_f64_e32 v[21:22], v[21:22], v[33:34]
	;; [unrolled: 1-line block ×3, first 2 shown]
	v_add_f64_e64 v[19:20], v[19:20], -v[31:32]
	v_add_f64_e64 v[23:24], v[27:28], -v[23:24]
	;; [unrolled: 1-line block ×3, first 2 shown]
	s_mov_b32 s12, 0x36b3c0b5
	s_mov_b32 s13, 0x3fac98ee
	;; [unrolled: 1-line block ×6, first 2 shown]
	global_wb scope:SCOPE_SE
	s_wait_dscnt 0x0
	s_barrier_signal -1
	s_barrier_wait -1
	global_inv scope:SCOPE_SE
	v_add_f64_e32 v[27:28], v[9:10], v[21:22]
	v_add_f64_e64 v[29:30], v[25:26], -v[21:22]
	v_add_f64_e64 v[31:32], v[23:24], -v[19:20]
	;; [unrolled: 1-line block ×3, first 2 shown]
	v_add_f64_e32 v[19:20], v[19:20], v[23:24]
	v_add_f64_e32 v[27:28], v[27:28], v[25:26]
	v_add_f64_e64 v[25:26], v[9:10], -v[25:26]
	s_wait_alu 0xfffe
	v_mul_f64_e32 v[29:30], s[12:13], v[29:30]
	s_mov_b32 s12, 0x37e14327
	v_add_f64_e64 v[9:10], v[21:22], -v[9:10]
	v_add_f64_e64 v[21:22], v[7:8], -v[23:24]
	v_mul_f64_e32 v[23:24], s[16:17], v[31:32]
	s_mov_b32 s13, 0x3fe948f6
	v_mul_f64_e32 v[31:32], s[18:19], v[33:34]
	s_mov_b32 s16, 0xaaaaaaaa
	s_mov_b32 s17, 0xbff2aaaa
	v_add_f64_e32 v[7:8], v[7:8], v[19:20]
	v_add_f64_e32 v[5:6], v[5:6], v[27:28]
	s_wait_alu 0xfffe
	v_mul_f64_e32 v[35:36], s[12:13], v[25:26]
	v_fma_f64 v[19:20], v[25:26], s[12:13], v[29:30]
	s_mov_b32 s12, 0x37c3f68c
	v_fma_f64 v[25:26], v[9:10], s[20:21], -v[29:30]
	s_mov_b32 s21, 0xbfe77f67
	v_fma_f64 v[29:30], v[21:22], s[30:31], v[23:24]
	s_mov_b32 s31, 0xbfd5d0dc
	v_fma_f64 v[23:24], v[33:34], s[18:19], -v[23:24]
	s_wait_alu 0xfffe
	v_fma_f64 v[21:22], v[21:22], s[30:31], -v[31:32]
	s_mov_b32 s13, 0x3fdc38aa
	v_fma_f64 v[31:32], v[27:28], s[16:17], v[5:6]
	v_fma_f64 v[33:34], v[9:10], s[20:21], -v[35:36]
	s_wait_alu 0xfffe
	v_fma_f64 v[9:10], v[7:8], s[12:13], v[29:30]
	v_fma_f64 v[23:24], v[7:8], s[12:13], v[23:24]
	v_fma_f64 v[29:30], v[7:8], s[12:13], v[21:22]
	v_add_f64_e32 v[27:28], v[31:32], v[19:20]
	v_add_f64_e32 v[33:34], v[31:32], v[33:34]
	;; [unrolled: 1-line block ×3, first 2 shown]
	s_delay_alu instid0(VALU_DEP_3) | instskip(NEXT) | instid1(VALU_DEP_3)
	v_add_f64_e64 v[7:8], v[27:28], -v[9:10]
	v_add_f64_e64 v[19:20], v[33:34], -v[29:30]
	s_delay_alu instid0(VALU_DEP_3)
	v_add_f64_e32 v[21:22], v[25:26], v[23:24]
	v_add_f64_e64 v[23:24], v[25:26], -v[23:24]
	v_add_f64_e32 v[25:26], v[33:34], v[29:30]
	s_and_saveexec_b32 s12, s0
	s_cbranch_execz .LBB0_22
; %bb.21:
	v_add_f64_e32 v[9:10], v[27:28], v[9:10]
	v_add3_u32 v27, 0, v47, v46
	ds_store_2addr_b64 v27, v[5:6], v[7:8] offset1:6
	ds_store_2addr_b64 v27, v[19:20], v[21:22] offset0:12 offset1:18
	ds_store_2addr_b64 v27, v[23:24], v[25:26] offset0:24 offset1:30
	ds_store_b64 v27, v[9:10] offset:288
.LBB0_22:
	s_wait_alu 0xfffe
	s_or_b32 exec_lo, exec_lo, s12
	global_wb scope:SCOPE_SE
	s_wait_dscnt 0x0
	s_barrier_signal -1
	s_barrier_wait -1
	global_inv scope:SCOPE_SE
	s_and_saveexec_b32 s0, s1
	s_cbranch_execz .LBB0_24
; %bb.23:
	v_add3_u32 v5, 0, v40, v46
	s_delay_alu instid0(VALU_DEP_1)
	v_add_nc_u32_e32 v9, 0x800, v5
	v_add_nc_u32_e32 v10, 0x1400, v5
	ds_load_2addr_b64 v[5:8], v5 offset1:168
	ds_load_2addr_b64 v[19:22], v9 offset0:80 offset1:248
	ds_load_2addr_b64 v[23:26], v10 offset0:32 offset1:200
.LBB0_24:
	s_wait_alu 0xfffe
	s_or_b32 exec_lo, exec_lo, s0
	v_mul_lo_u16 v9, v45, 37
	s_mov_b32 s12, 0xe8584caa
	s_mov_b32 s13, 0x3febb67a
	;; [unrolled: 1-line block ×3, first 2 shown]
	s_wait_alu 0xfffe
	s_mov_b32 s16, s12
	v_lshrrev_b16 v38, 8, v9
	s_delay_alu instid0(VALU_DEP_1) | instskip(NEXT) | instid1(VALU_DEP_1)
	v_mul_lo_u16 v9, v38, 7
	v_sub_nc_u16 v9, v45, v9
	s_delay_alu instid0(VALU_DEP_1) | instskip(NEXT) | instid1(VALU_DEP_1)
	v_and_b32_e32 v35, 0xff, v9
	v_mul_u32_u24_e32 v9, 5, v35
	s_delay_alu instid0(VALU_DEP_1)
	v_lshlrev_b32_e32 v9, 4, v9
	s_clause 0x4
	global_load_b128 v[27:30], v9, s[28:29] offset:32
	global_load_b128 v[31:34], v9, s[28:29] offset:64
	global_load_b128 v[47:50], v9, s[28:29]
	global_load_b128 v[51:54], v9, s[28:29] offset:16
	global_load_b128 v[55:58], v9, s[28:29] offset:48
	global_wb scope:SCOPE_SE
	s_wait_loadcnt_dscnt 0x0
	s_barrier_signal -1
	s_barrier_wait -1
	global_inv scope:SCOPE_SE
	v_mul_f64_e32 v[9:10], v[21:22], v[29:30]
	v_mul_f64_e32 v[36:37], v[25:26], v[33:34]
	;; [unrolled: 1-line block ×6, first 2 shown]
	v_fma_f64 v[33:34], v[13:14], v[27:28], -v[9:10]
	v_fma_f64 v[9:10], v[17:18], v[31:32], -v[36:37]
	v_fma_f64 v[17:18], v[21:22], v[27:28], v[29:30]
	v_fma_f64 v[13:14], v[25:26], v[31:32], v[41:42]
	v_fma_f64 v[3:4], v[3:4], v[47:48], -v[59:60]
	v_fma_f64 v[21:22], v[7:8], v[47:48], v[49:50]
	v_mul_f64_e32 v[27:28], v[19:20], v[53:54]
	v_mul_f64_e32 v[29:30], v[11:12], v[53:54]
	;; [unrolled: 1-line block ×4, first 2 shown]
	v_add_f64_e32 v[25:26], v[33:34], v[9:10]
	v_add_f64_e64 v[49:50], v[33:34], -v[9:10]
	v_add_f64_e32 v[7:8], v[17:18], v[13:14]
	v_add_f64_e64 v[47:48], v[17:18], -v[13:14]
	v_fma_f64 v[27:28], v[11:12], v[51:52], -v[27:28]
	v_fma_f64 v[31:32], v[19:20], v[51:52], v[29:30]
	v_fma_f64 v[29:30], v[15:16], v[55:56], -v[36:37]
	v_fma_f64 v[11:12], v[23:24], v[55:56], v[41:42]
	v_and_b32_e32 v36, 0xffff, v38
	v_fma_f64 v[25:26], v[25:26], -0.5, v[3:4]
	v_fma_f64 v[7:8], v[7:8], -0.5, v[21:22]
	s_delay_alu instid0(VALU_DEP_2) | instskip(SKIP_2) | instid1(VALU_DEP_3)
	v_fma_f64 v[23:24], v[47:48], s[12:13], v[25:26]
	s_wait_alu 0xfffe
	v_fma_f64 v[15:16], v[47:48], s[16:17], v[25:26]
	v_fma_f64 v[19:20], v[49:50], s[16:17], v[7:8]
	;; [unrolled: 1-line block ×3, first 2 shown]
	s_and_saveexec_b32 s0, s1
	s_cbranch_execz .LBB0_26
; %bb.25:
	v_add_f64_e32 v[7:8], v[27:28], v[29:30]
	v_add_f64_e64 v[37:38], v[31:32], -v[11:12]
	v_mul_f64_e32 v[41:42], -0.5, v[15:16]
	v_add_f64_e32 v[47:48], v[1:2], v[27:28]
	v_add_f64_e32 v[3:4], v[3:4], v[33:34]
	v_mul_f64_e32 v[33:34], s[12:13], v[19:20]
	v_fma_f64 v[1:2], v[7:8], -0.5, v[1:2]
	v_fma_f64 v[7:8], v[25:26], s[12:13], v[41:42]
	v_add_f64_e32 v[41:42], v[47:48], v[29:30]
	v_add_f64_e32 v[3:4], v[3:4], v[9:10]
	v_fma_f64 v[9:10], v[23:24], 0.5, v[33:34]
	v_fma_f64 v[33:34], v[37:38], s[16:17], v[1:2]
	v_fma_f64 v[1:2], v[37:38], s[12:13], v[1:2]
	s_delay_alu instid0(VALU_DEP_4) | instskip(SKIP_1) | instid1(VALU_DEP_4)
	v_add_f64_e64 v[37:38], v[41:42], -v[3:4]
	v_add_f64_e32 v[3:4], v[41:42], v[3:4]
	v_add_f64_e64 v[41:42], v[33:34], -v[7:8]
	s_delay_alu instid0(VALU_DEP_4) | instskip(SKIP_3) | instid1(VALU_DEP_1)
	v_add_f64_e32 v[47:48], v[1:2], v[9:10]
	v_add_f64_e32 v[7:8], v[33:34], v[7:8]
	v_add_f64_e64 v[1:2], v[1:2], -v[9:10]
	v_mad_u32_u24 v9, v36, 42, v35
	v_mul_u32_u24_e32 v9, 48, v9
	s_delay_alu instid0(VALU_DEP_1)
	v_add3_u32 v9, 0, v9, v46
	ds_store_2addr_b64 v9, v[3:4], v[47:48] offset1:42
	ds_store_2addr_b64 v9, v[7:8], v[37:38] offset0:84 offset1:126
	ds_store_2addr_b64 v9, v[1:2], v[41:42] offset0:168 offset1:210
.LBB0_26:
	s_wait_alu 0xfffe
	s_or_b32 exec_lo, exec_lo, s0
	v_add3_u32 v33, 0, v40, v46
	global_wb scope:SCOPE_SE
	s_wait_dscnt 0x0
	s_barrier_signal -1
	s_barrier_wait -1
	global_inv scope:SCOPE_SE
	v_add_nc_u32_e32 v7, 0xfc0, v33
	ds_load_2addr_b64 v[1:4], v33 offset1:252
	ds_load_2addr_b64 v[7:10], v7 offset1:252
	global_wb scope:SCOPE_SE
	s_wait_dscnt 0x0
	s_barrier_signal -1
	s_barrier_wait -1
	global_inv scope:SCOPE_SE
	s_and_saveexec_b32 s0, s1
	s_cbranch_execz .LBB0_28
; %bb.27:
	v_add_f64_e32 v[37:38], v[31:32], v[11:12]
	s_mov_b32 s12, 0xe8584caa
	s_mov_b32 s13, 0xbfebb67a
	v_add_f64_e32 v[31:32], v[5:6], v[31:32]
	v_add_f64_e64 v[27:28], v[27:28], -v[29:30]
	v_add_f64_e32 v[17:18], v[21:22], v[17:18]
	s_wait_alu 0xfffe
	v_mul_f64_e32 v[23:24], s[12:13], v[23:24]
	v_mul_f64_e32 v[21:22], -0.5, v[25:26]
	s_mov_b32 s17, 0x3febb67a
	s_mov_b32 s16, s12
	v_fma_f64 v[5:6], v[37:38], -0.5, v[5:6]
	v_add_f64_e32 v[11:12], v[31:32], v[11:12]
	v_add_f64_e32 v[13:14], v[17:18], v[13:14]
	v_fma_f64 v[17:18], v[19:20], 0.5, v[23:24]
	v_fma_f64 v[15:16], v[15:16], s[12:13], v[21:22]
	v_fma_f64 v[19:20], v[27:28], s[12:13], v[5:6]
	s_wait_alu 0xfffe
	v_fma_f64 v[5:6], v[27:28], s[16:17], v[5:6]
	v_add_f64_e32 v[21:22], v[11:12], v[13:14]
	v_add_f64_e64 v[11:12], v[11:12], -v[13:14]
	s_delay_alu instid0(VALU_DEP_4) | instskip(NEXT) | instid1(VALU_DEP_4)
	v_add_f64_e32 v[13:14], v[19:20], v[17:18]
	v_add_f64_e32 v[23:24], v[5:6], v[15:16]
	v_add_f64_e64 v[17:18], v[19:20], -v[17:18]
	v_add_f64_e64 v[5:6], v[5:6], -v[15:16]
	v_mad_u32_u24 v15, v36, 42, v35
	s_delay_alu instid0(VALU_DEP_1) | instskip(NEXT) | instid1(VALU_DEP_1)
	v_mul_u32_u24_e32 v15, 48, v15
	v_add3_u32 v15, 0, v15, v46
	ds_store_2addr_b64 v15, v[21:22], v[13:14] offset1:42
	ds_store_2addr_b64 v15, v[23:24], v[11:12] offset0:84 offset1:126
	ds_store_2addr_b64 v15, v[17:18], v[5:6] offset0:168 offset1:210
.LBB0_28:
	s_wait_alu 0xfffe
	s_or_b32 exec_lo, exec_lo, s0
	s_or_b32 s0, s22, vcc_lo
	global_wb scope:SCOPE_SE
	s_wait_dscnt 0x0
	s_barrier_signal -1
	s_barrier_wait -1
	global_inv scope:SCOPE_SE
	s_wait_alu 0xfffe
	s_and_saveexec_b32 s1, s0
	s_cbranch_execz .LBB0_30
; %bb.29:
	v_mul_lo_u16 v5, v45, 49
	v_and_b32_e32 v0, 0xffff, v0
	s_add_nc_u64 s[0:1], s[2:3], s[10:11]
	s_lshl_b64 s[2:3], s[26:27], 4
	s_delay_alu instid0(VALU_DEP_2) | instskip(NEXT) | instid1(VALU_DEP_2)
	v_lshrrev_b16 v5, 11, v5
	v_mul_u32_u24_e32 v0, 0x105, v0
	s_delay_alu instid0(VALU_DEP_2) | instskip(NEXT) | instid1(VALU_DEP_2)
	v_mul_lo_u16 v5, v5, 42
	v_lshrrev_b32_e32 v0, 16, v0
	s_delay_alu instid0(VALU_DEP_2) | instskip(NEXT) | instid1(VALU_DEP_2)
	v_sub_nc_u16 v5, v45, v5
	v_mul_lo_u16 v0, 0xa8, v0
	s_delay_alu instid0(VALU_DEP_2) | instskip(NEXT) | instid1(VALU_DEP_1)
	v_and_b32_e32 v69, 0xff, v5
	v_mul_u32_u24_e32 v5, 3, v69
	v_add_nc_u32_e32 v6, 0x54, v69
	v_mul_lo_u32 v23, v39, v69
	v_add_nc_u32_e32 v24, 42, v69
	s_delay_alu instid0(VALU_DEP_4) | instskip(NEXT) | instid1(VALU_DEP_4)
	v_lshlrev_b32_e32 v5, 4, v5
	v_mul_lo_u32 v6, v39, v6
	s_clause 0x2
	global_load_b128 v[11:14], v5, s[28:29] offset:576
	global_load_b128 v[15:18], v5, s[28:29] offset:560
	;; [unrolled: 1-line block ×3, first 2 shown]
	v_add_nc_u32_e32 v5, 0x7e, v69
	v_mul_lo_u32 v24, v39, v24
	v_and_b32_e32 v25, 0xff, v23
	v_lshrrev_b32_e32 v23, 4, v23
	v_and_b32_e32 v27, 0xff, v6
	v_mul_lo_u32 v5, v39, v5
	v_lshrrev_b32_e32 v6, 4, v6
	v_lshlrev_b32_e32 v25, 4, v25
	v_and_b32_e32 v29, 0xff0, v23
	v_and_b32_e32 v28, 0xff, v24
	v_lshrrev_b32_e32 v24, 4, v24
	v_lshlrev_b32_e32 v32, 4, v27
	v_and_b32_e32 v6, 0xff0, v6
	v_and_b32_e32 v26, 0xff, v5
	v_lshrrev_b32_e32 v5, 4, v5
	v_lshlrev_b32_e32 v42, 4, v28
	v_and_b32_e32 v43, 0xff0, v24
	s_delay_alu instid0(VALU_DEP_4) | instskip(NEXT) | instid1(VALU_DEP_4)
	v_lshlrev_b32_e32 v31, 4, v26
	v_and_b32_e32 v5, 0xff0, v5
	s_clause 0x7
	global_load_b128 v[23:26], v25, s[8:9]
	global_load_b128 v[27:30], v29, s[8:9] offset:4096
	global_load_b128 v[34:37], v31, s[8:9]
	global_load_b128 v[38:41], v5, s[8:9] offset:4096
	;; [unrolled: 2-line block ×4, first 2 shown]
	v_add_nc_u32_e32 v5, 0xfc0, v33
	ds_load_2addr_b64 v[61:64], v33 offset1:252
	ds_load_2addr_b64 v[65:68], v5 offset1:252
	s_load_b64 s[0:1], s[0:1], 0x0
	s_wait_kmcnt 0x0
	s_mul_u64 s[0:1], s[0:1], s[24:25]
	s_wait_alu 0xfffe
	s_lshl_b64 s[0:1], s[0:1], 4
	s_wait_alu 0xfffe
	s_add_nc_u64 s[0:1], s[14:15], s[0:1]
	s_wait_alu 0xfffe
	s_add_nc_u64 s[0:1], s[0:1], s[2:3]
	s_wait_loadcnt 0xa
	v_mul_f64_e32 v[5:6], v[7:8], v[13:14]
	s_wait_loadcnt_dscnt 0x901
	v_mul_f64_e32 v[31:32], v[63:64], v[17:18]
	s_wait_loadcnt_dscnt 0x800
	v_mul_f64_e32 v[42:43], v[67:68], v[21:22]
	v_mul_f64_e32 v[13:14], v[65:66], v[13:14]
	;; [unrolled: 1-line block ×4, first 2 shown]
	v_fma_f64 v[5:6], v[65:66], v[11:12], v[5:6]
	v_fma_f64 v[3:4], v[3:4], v[15:16], -v[31:32]
	v_fma_f64 v[9:10], v[9:10], v[19:20], -v[42:43]
	;; [unrolled: 1-line block ×3, first 2 shown]
	v_fma_f64 v[11:12], v[63:64], v[15:16], v[17:18]
	v_fma_f64 v[13:14], v[67:68], v[19:20], v[21:22]
	s_wait_loadcnt 0x6
	v_mul_f64_e32 v[17:18], v[23:24], v[29:30]
	s_wait_loadcnt 0x4
	v_mul_f64_e32 v[19:20], v[34:35], v[40:41]
	;; [unrolled: 2-line block ×4, first 2 shown]
	v_add_f64_e64 v[5:6], v[61:62], -v[5:6]
	v_add_f64_e64 v[9:10], v[3:4], -v[9:10]
	;; [unrolled: 1-line block ×4, first 2 shown]
	v_fma_f64 v[17:18], v[25:26], v[27:28], v[17:18]
	v_fma_f64 v[19:20], v[36:37], v[38:39], v[19:20]
	v_fma_f64 v[21:22], v[47:48], v[49:50], v[21:22]
	v_fma_f64 v[15:16], v[61:62], 2.0, -v[5:6]
	v_fma_f64 v[3:4], v[3:4], 2.0, -v[9:10]
	;; [unrolled: 1-line block ×4, first 2 shown]
	v_add_f64_e64 v[13:14], v[7:8], -v[13:14]
	s_delay_alu instid0(VALU_DEP_3) | instskip(SKIP_1) | instid1(VALU_DEP_4)
	v_add_f64_e64 v[42:43], v[1:2], -v[3:4]
	v_add_f64_e32 v[3:4], v[5:6], v[9:10]
	v_add_f64_e64 v[11:12], v[15:16], -v[11:12]
	v_mul_f64_e32 v[9:10], v[25:26], v[29:30]
	v_mul_f64_e32 v[29:30], v[36:37], v[40:41]
	;; [unrolled: 1-line block ×4, first 2 shown]
	v_fma_f64 v[25:26], v[55:56], v[57:58], v[31:32]
	v_fma_f64 v[31:32], v[7:8], 2.0, -v[13:14]
	v_and_b32_e32 v7, 0xffff, v0
	v_mad_co_u64_u32 v[55:56], null, s6, v44, 0
	v_fma_f64 v[36:37], v[1:2], 2.0, -v[42:43]
	v_fma_f64 v[47:48], v[5:6], 2.0, -v[3:4]
	v_fma_f64 v[15:16], v[15:16], 2.0, -v[11:12]
	v_fma_f64 v[8:9], v[23:24], v[27:28], -v[9:10]
	v_fma_f64 v[0:1], v[34:35], v[38:39], -v[29:30]
	;; [unrolled: 1-line block ×3, first 2 shown]
	v_mul_f64_e32 v[5:6], v[13:14], v[19:20]
	v_mul_f64_e32 v[19:20], v[3:4], v[19:20]
	;; [unrolled: 1-line block ×3, first 2 shown]
	v_fma_f64 v[27:28], v[53:54], v[57:58], -v[51:52]
	v_mul_f64_e32 v[33:34], v[31:32], v[25:26]
	v_mul_f64_e32 v[21:22], v[11:12], v[21:22]
	v_mov_b32_e32 v2, v56
	v_add_nc_u32_e32 v10, v69, v7
	s_delay_alu instid0(VALU_DEP_2) | instskip(NEXT) | instid1(VALU_DEP_2)
	v_mad_co_u64_u32 v[40:41], null, s7, v44, v[2:3]
	v_add_nc_u32_e32 v46, 42, v10
	v_mad_co_u64_u32 v[44:45], null, s4, v10, 0
	v_add_nc_u32_e32 v59, 0x54, v10
	v_add_nc_u32_e32 v60, 0x7e, v10
	s_delay_alu instid0(VALU_DEP_4) | instskip(SKIP_1) | instid1(VALU_DEP_4)
	v_mad_co_u64_u32 v[49:50], null, s4, v46, 0
	v_mov_b32_e32 v56, v40
	v_mad_co_u64_u32 v[51:52], null, s4, v59, 0
	v_mov_b32_e32 v2, v45
	v_mad_co_u64_u32 v[53:54], null, s4, v60, 0
	v_mov_b32_e32 v7, v50
	s_delay_alu instid0(VALU_DEP_3)
	v_mad_co_u64_u32 v[40:41], null, s5, v10, v[2:3]
	v_mov_b32_e32 v2, v52
	v_mul_f64_e32 v[38:39], v[36:37], v[17:18]
	v_mul_f64_e32 v[25:26], v[47:48], v[25:26]
	;; [unrolled: 1-line block ×3, first 2 shown]
	v_mad_co_u64_u32 v[57:58], null, s5, v46, v[7:8]
	v_mov_b32_e32 v45, v40
	v_mad_co_u64_u32 v[58:59], null, s5, v59, v[2:3]
	v_fma_f64 v[2:3], v[3:4], v[0:1], v[5:6]
	v_fma_f64 v[0:1], v[13:14], v[0:1], -v[19:20]
	v_fma_f64 v[6:7], v[11:12], v[23:24], v[29:30]
	v_fma_f64 v[10:11], v[47:48], v[27:28], v[33:34]
	v_fma_f64 v[4:5], v[42:43], v[23:24], -v[21:22]
	v_dual_mov_b32 v35, v54 :: v_dual_mov_b32 v50, v57
	v_lshlrev_b64_e32 v[19:20], 4, v[44:45]
	v_mov_b32_e32 v52, v58
	s_delay_alu instid0(VALU_DEP_1)
	v_lshlrev_b64_e32 v[21:22], 4, v[51:52]
	v_fma_f64 v[14:15], v[15:16], v[8:9], v[38:39]
	v_fma_f64 v[12:13], v[36:37], v[8:9], -v[17:18]
	v_fma_f64 v[8:9], v[31:32], v[27:28], -v[25:26]
	v_mad_co_u64_u32 v[16:17], null, s5, v60, v[35:36]
	v_lshlrev_b64_e32 v[17:18], 4, v[55:56]
	s_wait_alu 0xfffe
	s_delay_alu instid0(VALU_DEP_1) | instskip(NEXT) | instid1(VALU_DEP_3)
	v_add_co_u32 v25, vcc_lo, s0, v17
	v_mov_b32_e32 v54, v16
	s_wait_alu 0xfffd
	s_delay_alu instid0(VALU_DEP_3) | instskip(SKIP_3) | instid1(VALU_DEP_3)
	v_add_co_ci_u32_e32 v26, vcc_lo, s1, v18, vcc_lo
	v_lshlrev_b64_e32 v[16:17], 4, v[49:50]
	v_add_co_u32 v18, vcc_lo, v25, v19
	s_wait_alu 0xfffd
	v_add_co_ci_u32_e32 v19, vcc_lo, v26, v20, vcc_lo
	v_lshlrev_b64_e32 v[23:24], 4, v[53:54]
	s_delay_alu instid0(VALU_DEP_4)
	v_add_co_u32 v16, vcc_lo, v25, v16
	s_wait_alu 0xfffd
	v_add_co_ci_u32_e32 v17, vcc_lo, v26, v17, vcc_lo
	v_add_co_u32 v20, vcc_lo, v25, v21
	s_wait_alu 0xfffd
	v_add_co_ci_u32_e32 v21, vcc_lo, v26, v22, vcc_lo
	;; [unrolled: 3-line block ×3, first 2 shown]
	s_clause 0x3
	global_store_b128 v[18:19], v[12:15], off
	global_store_b128 v[16:17], v[8:11], off
	;; [unrolled: 1-line block ×4, first 2 shown]
.LBB0_30:
	s_nop 0
	s_sendmsg sendmsg(MSG_DEALLOC_VGPRS)
	s_endpgm
	.section	.rodata,"a",@progbits
	.p2align	6, 0x0
	.amdhsa_kernel fft_rtc_fwd_len168_factors_7_6_4_wgs_252_tpt_42_halfLds_dp_op_CI_CI_sbcc_twdbase8_2step_dirReg
		.amdhsa_group_segment_fixed_size 0
		.amdhsa_private_segment_fixed_size 0
		.amdhsa_kernarg_size 112
		.amdhsa_user_sgpr_count 2
		.amdhsa_user_sgpr_dispatch_ptr 0
		.amdhsa_user_sgpr_queue_ptr 0
		.amdhsa_user_sgpr_kernarg_segment_ptr 1
		.amdhsa_user_sgpr_dispatch_id 0
		.amdhsa_user_sgpr_private_segment_size 0
		.amdhsa_wavefront_size32 1
		.amdhsa_uses_dynamic_stack 0
		.amdhsa_enable_private_segment 0
		.amdhsa_system_sgpr_workgroup_id_x 1
		.amdhsa_system_sgpr_workgroup_id_y 0
		.amdhsa_system_sgpr_workgroup_id_z 0
		.amdhsa_system_sgpr_workgroup_info 0
		.amdhsa_system_vgpr_workitem_id 0
		.amdhsa_next_free_vgpr 70
		.amdhsa_next_free_sgpr 61
		.amdhsa_reserve_vcc 1
		.amdhsa_float_round_mode_32 0
		.amdhsa_float_round_mode_16_64 0
		.amdhsa_float_denorm_mode_32 3
		.amdhsa_float_denorm_mode_16_64 3
		.amdhsa_fp16_overflow 0
		.amdhsa_workgroup_processor_mode 1
		.amdhsa_memory_ordered 1
		.amdhsa_forward_progress 0
		.amdhsa_round_robin_scheduling 0
		.amdhsa_exception_fp_ieee_invalid_op 0
		.amdhsa_exception_fp_denorm_src 0
		.amdhsa_exception_fp_ieee_div_zero 0
		.amdhsa_exception_fp_ieee_overflow 0
		.amdhsa_exception_fp_ieee_underflow 0
		.amdhsa_exception_fp_ieee_inexact 0
		.amdhsa_exception_int_div_zero 0
	.end_amdhsa_kernel
	.text
.Lfunc_end0:
	.size	fft_rtc_fwd_len168_factors_7_6_4_wgs_252_tpt_42_halfLds_dp_op_CI_CI_sbcc_twdbase8_2step_dirReg, .Lfunc_end0-fft_rtc_fwd_len168_factors_7_6_4_wgs_252_tpt_42_halfLds_dp_op_CI_CI_sbcc_twdbase8_2step_dirReg
                                        ; -- End function
	.section	.AMDGPU.csdata,"",@progbits
; Kernel info:
; codeLenInByte = 6188
; NumSgprs: 63
; NumVgprs: 70
; ScratchSize: 0
; MemoryBound: 1
; FloatMode: 240
; IeeeMode: 1
; LDSByteSize: 0 bytes/workgroup (compile time only)
; SGPRBlocks: 7
; VGPRBlocks: 8
; NumSGPRsForWavesPerEU: 63
; NumVGPRsForWavesPerEU: 70
; Occupancy: 16
; WaveLimiterHint : 1
; COMPUTE_PGM_RSRC2:SCRATCH_EN: 0
; COMPUTE_PGM_RSRC2:USER_SGPR: 2
; COMPUTE_PGM_RSRC2:TRAP_HANDLER: 0
; COMPUTE_PGM_RSRC2:TGID_X_EN: 1
; COMPUTE_PGM_RSRC2:TGID_Y_EN: 0
; COMPUTE_PGM_RSRC2:TGID_Z_EN: 0
; COMPUTE_PGM_RSRC2:TIDIG_COMP_CNT: 0
	.text
	.p2alignl 7, 3214868480
	.fill 96, 4, 3214868480
	.type	__hip_cuid_b51e08ea054ffbad,@object ; @__hip_cuid_b51e08ea054ffbad
	.section	.bss,"aw",@nobits
	.globl	__hip_cuid_b51e08ea054ffbad
__hip_cuid_b51e08ea054ffbad:
	.byte	0                               ; 0x0
	.size	__hip_cuid_b51e08ea054ffbad, 1

	.ident	"AMD clang version 19.0.0git (https://github.com/RadeonOpenCompute/llvm-project roc-6.4.0 25133 c7fe45cf4b819c5991fe208aaa96edf142730f1d)"
	.section	".note.GNU-stack","",@progbits
	.addrsig
	.addrsig_sym __hip_cuid_b51e08ea054ffbad
	.amdgpu_metadata
---
amdhsa.kernels:
  - .args:
      - .actual_access:  read_only
        .address_space:  global
        .offset:         0
        .size:           8
        .value_kind:     global_buffer
      - .address_space:  global
        .offset:         8
        .size:           8
        .value_kind:     global_buffer
      - .offset:         16
        .size:           8
        .value_kind:     by_value
      - .actual_access:  read_only
        .address_space:  global
        .offset:         24
        .size:           8
        .value_kind:     global_buffer
      - .actual_access:  read_only
        .address_space:  global
        .offset:         32
        .size:           8
        .value_kind:     global_buffer
      - .actual_access:  read_only
        .address_space:  global
        .offset:         40
        .size:           8
        .value_kind:     global_buffer
      - .offset:         48
        .size:           8
        .value_kind:     by_value
      - .actual_access:  read_only
        .address_space:  global
        .offset:         56
        .size:           8
        .value_kind:     global_buffer
      - .actual_access:  read_only
        .address_space:  global
        .offset:         64
        .size:           8
        .value_kind:     global_buffer
      - .offset:         72
        .size:           4
        .value_kind:     by_value
      - .actual_access:  read_only
        .address_space:  global
        .offset:         80
        .size:           8
        .value_kind:     global_buffer
      - .actual_access:  read_only
        .address_space:  global
        .offset:         88
        .size:           8
        .value_kind:     global_buffer
      - .actual_access:  read_only
        .address_space:  global
        .offset:         96
        .size:           8
        .value_kind:     global_buffer
      - .actual_access:  write_only
        .address_space:  global
        .offset:         104
        .size:           8
        .value_kind:     global_buffer
    .group_segment_fixed_size: 0
    .kernarg_segment_align: 8
    .kernarg_segment_size: 112
    .language:       OpenCL C
    .language_version:
      - 2
      - 0
    .max_flat_workgroup_size: 252
    .name:           fft_rtc_fwd_len168_factors_7_6_4_wgs_252_tpt_42_halfLds_dp_op_CI_CI_sbcc_twdbase8_2step_dirReg
    .private_segment_fixed_size: 0
    .sgpr_count:     63
    .sgpr_spill_count: 0
    .symbol:         fft_rtc_fwd_len168_factors_7_6_4_wgs_252_tpt_42_halfLds_dp_op_CI_CI_sbcc_twdbase8_2step_dirReg.kd
    .uniform_work_group_size: 1
    .uses_dynamic_stack: false
    .vgpr_count:     70
    .vgpr_spill_count: 0
    .wavefront_size: 32
    .workgroup_processor_mode: 1
amdhsa.target:   amdgcn-amd-amdhsa--gfx1201
amdhsa.version:
  - 1
  - 2
...

	.end_amdgpu_metadata
